;; amdgpu-corpus repo=ROCm/rocFFT kind=compiled arch=gfx906 opt=O3
	.text
	.amdgcn_target "amdgcn-amd-amdhsa--gfx906"
	.amdhsa_code_object_version 6
	.protected	fft_rtc_fwd_len1500_factors_5_10_10_3_wgs_150_tpt_150_halfLds_sp_op_CI_CI_sbrr_dirReg ; -- Begin function fft_rtc_fwd_len1500_factors_5_10_10_3_wgs_150_tpt_150_halfLds_sp_op_CI_CI_sbrr_dirReg
	.globl	fft_rtc_fwd_len1500_factors_5_10_10_3_wgs_150_tpt_150_halfLds_sp_op_CI_CI_sbrr_dirReg
	.p2align	8
	.type	fft_rtc_fwd_len1500_factors_5_10_10_3_wgs_150_tpt_150_halfLds_sp_op_CI_CI_sbrr_dirReg,@function
fft_rtc_fwd_len1500_factors_5_10_10_3_wgs_150_tpt_150_halfLds_sp_op_CI_CI_sbrr_dirReg: ; @fft_rtc_fwd_len1500_factors_5_10_10_3_wgs_150_tpt_150_halfLds_sp_op_CI_CI_sbrr_dirReg
; %bb.0:
	s_load_dwordx4 s[16:19], s[4:5], 0x18
	s_load_dwordx4 s[8:11], s[4:5], 0x0
	;; [unrolled: 1-line block ×3, first 2 shown]
	v_mul_u32_u24_e32 v1, 0x1b5, v0
	v_mov_b32_e32 v7, 0
	s_waitcnt lgkmcnt(0)
	s_load_dwordx2 s[20:21], s[16:17], 0x0
	s_load_dwordx2 s[2:3], s[18:19], 0x0
	v_cmp_lt_u64_e64 s[0:1], s[10:11], 2
	v_mov_b32_e32 v5, 0
	v_add_u32_sdwa v9, s6, v1 dst_sel:DWORD dst_unused:UNUSED_PAD src0_sel:DWORD src1_sel:WORD_1
	v_mov_b32_e32 v10, v7
	s_and_b64 vcc, exec, s[0:1]
	v_mov_b32_e32 v6, 0
	s_cbranch_vccnz .LBB0_8
; %bb.1:
	s_load_dwordx2 s[0:1], s[4:5], 0x10
	s_add_u32 s6, s18, 8
	s_addc_u32 s7, s19, 0
	s_add_u32 s22, s16, 8
	s_addc_u32 s23, s17, 0
	v_mov_b32_e32 v5, 0
	s_waitcnt lgkmcnt(0)
	s_add_u32 s24, s0, 8
	v_mov_b32_e32 v6, 0
	v_mov_b32_e32 v1, v5
	s_addc_u32 s25, s1, 0
	s_mov_b64 s[26:27], 1
	v_mov_b32_e32 v2, v6
.LBB0_2:                                ; =>This Inner Loop Header: Depth=1
	s_load_dwordx2 s[28:29], s[24:25], 0x0
                                        ; implicit-def: $vgpr3_vgpr4
	s_waitcnt lgkmcnt(0)
	v_or_b32_e32 v8, s29, v10
	v_cmp_ne_u64_e32 vcc, 0, v[7:8]
	s_and_saveexec_b64 s[0:1], vcc
	s_xor_b64 s[30:31], exec, s[0:1]
	s_cbranch_execz .LBB0_4
; %bb.3:                                ;   in Loop: Header=BB0_2 Depth=1
	v_cvt_f32_u32_e32 v3, s28
	v_cvt_f32_u32_e32 v4, s29
	s_sub_u32 s0, 0, s28
	s_subb_u32 s1, 0, s29
	v_mac_f32_e32 v3, 0x4f800000, v4
	v_rcp_f32_e32 v3, v3
	v_mul_f32_e32 v3, 0x5f7ffffc, v3
	v_mul_f32_e32 v4, 0x2f800000, v3
	v_trunc_f32_e32 v4, v4
	v_mac_f32_e32 v3, 0xcf800000, v4
	v_cvt_u32_f32_e32 v4, v4
	v_cvt_u32_f32_e32 v3, v3
	v_mul_lo_u32 v8, s0, v4
	v_mul_hi_u32 v11, s0, v3
	v_mul_lo_u32 v13, s1, v3
	v_mul_lo_u32 v12, s0, v3
	v_add_u32_e32 v8, v11, v8
	v_add_u32_e32 v8, v8, v13
	v_mul_hi_u32 v11, v3, v12
	v_mul_lo_u32 v13, v3, v8
	v_mul_hi_u32 v15, v3, v8
	v_mul_hi_u32 v14, v4, v12
	v_mul_lo_u32 v12, v4, v12
	v_mul_hi_u32 v16, v4, v8
	v_add_co_u32_e32 v11, vcc, v11, v13
	v_addc_co_u32_e32 v13, vcc, 0, v15, vcc
	v_mul_lo_u32 v8, v4, v8
	v_add_co_u32_e32 v11, vcc, v11, v12
	v_addc_co_u32_e32 v11, vcc, v13, v14, vcc
	v_addc_co_u32_e32 v12, vcc, 0, v16, vcc
	v_add_co_u32_e32 v8, vcc, v11, v8
	v_addc_co_u32_e32 v11, vcc, 0, v12, vcc
	v_add_co_u32_e32 v3, vcc, v3, v8
	v_addc_co_u32_e32 v4, vcc, v4, v11, vcc
	v_mul_lo_u32 v8, s0, v4
	v_mul_hi_u32 v11, s0, v3
	v_mul_lo_u32 v12, s1, v3
	v_mul_lo_u32 v13, s0, v3
	v_add_u32_e32 v8, v11, v8
	v_add_u32_e32 v8, v8, v12
	v_mul_lo_u32 v14, v3, v8
	v_mul_hi_u32 v15, v3, v13
	v_mul_hi_u32 v16, v3, v8
	;; [unrolled: 1-line block ×3, first 2 shown]
	v_mul_lo_u32 v13, v4, v13
	v_mul_hi_u32 v11, v4, v8
	v_add_co_u32_e32 v14, vcc, v15, v14
	v_addc_co_u32_e32 v15, vcc, 0, v16, vcc
	v_mul_lo_u32 v8, v4, v8
	v_add_co_u32_e32 v13, vcc, v14, v13
	v_addc_co_u32_e32 v12, vcc, v15, v12, vcc
	v_addc_co_u32_e32 v11, vcc, 0, v11, vcc
	v_add_co_u32_e32 v8, vcc, v12, v8
	v_addc_co_u32_e32 v11, vcc, 0, v11, vcc
	v_add_co_u32_e32 v8, vcc, v3, v8
	v_addc_co_u32_e32 v11, vcc, v4, v11, vcc
	v_mad_u64_u32 v[3:4], s[0:1], v9, v11, 0
	v_mul_hi_u32 v12, v9, v8
	v_add_co_u32_e32 v13, vcc, v12, v3
	v_addc_co_u32_e32 v14, vcc, 0, v4, vcc
	v_mad_u64_u32 v[3:4], s[0:1], v10, v8, 0
	v_mad_u64_u32 v[11:12], s[0:1], v10, v11, 0
	v_add_co_u32_e32 v3, vcc, v13, v3
	v_addc_co_u32_e32 v3, vcc, v14, v4, vcc
	v_addc_co_u32_e32 v4, vcc, 0, v12, vcc
	v_add_co_u32_e32 v8, vcc, v3, v11
	v_addc_co_u32_e32 v11, vcc, 0, v4, vcc
	v_mul_lo_u32 v12, s29, v8
	v_mul_lo_u32 v13, s28, v11
	v_mad_u64_u32 v[3:4], s[0:1], s28, v8, 0
	v_add3_u32 v4, v4, v13, v12
	v_sub_u32_e32 v12, v10, v4
	v_mov_b32_e32 v13, s29
	v_sub_co_u32_e32 v3, vcc, v9, v3
	v_subb_co_u32_e64 v12, s[0:1], v12, v13, vcc
	v_subrev_co_u32_e64 v13, s[0:1], s28, v3
	v_subbrev_co_u32_e64 v12, s[0:1], 0, v12, s[0:1]
	v_cmp_le_u32_e64 s[0:1], s29, v12
	v_cndmask_b32_e64 v14, 0, -1, s[0:1]
	v_cmp_le_u32_e64 s[0:1], s28, v13
	v_cndmask_b32_e64 v13, 0, -1, s[0:1]
	v_cmp_eq_u32_e64 s[0:1], s29, v12
	v_cndmask_b32_e64 v12, v14, v13, s[0:1]
	v_add_co_u32_e64 v13, s[0:1], 2, v8
	v_addc_co_u32_e64 v14, s[0:1], 0, v11, s[0:1]
	v_add_co_u32_e64 v15, s[0:1], 1, v8
	v_addc_co_u32_e64 v16, s[0:1], 0, v11, s[0:1]
	v_subb_co_u32_e32 v4, vcc, v10, v4, vcc
	v_cmp_ne_u32_e64 s[0:1], 0, v12
	v_cmp_le_u32_e32 vcc, s29, v4
	v_cndmask_b32_e64 v12, v16, v14, s[0:1]
	v_cndmask_b32_e64 v14, 0, -1, vcc
	v_cmp_le_u32_e32 vcc, s28, v3
	v_cndmask_b32_e64 v3, 0, -1, vcc
	v_cmp_eq_u32_e32 vcc, s29, v4
	v_cndmask_b32_e32 v3, v14, v3, vcc
	v_cmp_ne_u32_e32 vcc, 0, v3
	v_cndmask_b32_e64 v3, v15, v13, s[0:1]
	v_cndmask_b32_e32 v4, v11, v12, vcc
	v_cndmask_b32_e32 v3, v8, v3, vcc
.LBB0_4:                                ;   in Loop: Header=BB0_2 Depth=1
	s_andn2_saveexec_b64 s[0:1], s[30:31]
	s_cbranch_execz .LBB0_6
; %bb.5:                                ;   in Loop: Header=BB0_2 Depth=1
	v_cvt_f32_u32_e32 v3, s28
	s_sub_i32 s30, 0, s28
	v_rcp_iflag_f32_e32 v3, v3
	v_mul_f32_e32 v3, 0x4f7ffffe, v3
	v_cvt_u32_f32_e32 v3, v3
	v_mul_lo_u32 v4, s30, v3
	v_mul_hi_u32 v4, v3, v4
	v_add_u32_e32 v3, v3, v4
	v_mul_hi_u32 v3, v9, v3
	v_mul_lo_u32 v4, v3, s28
	v_add_u32_e32 v8, 1, v3
	v_sub_u32_e32 v4, v9, v4
	v_subrev_u32_e32 v11, s28, v4
	v_cmp_le_u32_e32 vcc, s28, v4
	v_cndmask_b32_e32 v4, v4, v11, vcc
	v_cndmask_b32_e32 v3, v3, v8, vcc
	v_add_u32_e32 v8, 1, v3
	v_cmp_le_u32_e32 vcc, s28, v4
	v_cndmask_b32_e32 v3, v3, v8, vcc
	v_mov_b32_e32 v4, v7
.LBB0_6:                                ;   in Loop: Header=BB0_2 Depth=1
	s_or_b64 exec, exec, s[0:1]
	v_mul_lo_u32 v8, v4, s28
	v_mul_lo_u32 v13, v3, s29
	v_mad_u64_u32 v[11:12], s[0:1], v3, s28, 0
	s_load_dwordx2 s[0:1], s[22:23], 0x0
	s_load_dwordx2 s[28:29], s[6:7], 0x0
	v_add3_u32 v8, v12, v13, v8
	v_sub_co_u32_e32 v9, vcc, v9, v11
	v_subb_co_u32_e32 v8, vcc, v10, v8, vcc
	s_waitcnt lgkmcnt(0)
	v_mul_lo_u32 v10, s0, v8
	v_mul_lo_u32 v11, s1, v9
	v_mad_u64_u32 v[5:6], s[0:1], s0, v9, v[5:6]
	v_mul_lo_u32 v8, s28, v8
	v_mul_lo_u32 v12, s29, v9
	v_mad_u64_u32 v[1:2], s[0:1], s28, v9, v[1:2]
	s_add_u32 s26, s26, 1
	s_addc_u32 s27, s27, 0
	s_add_u32 s6, s6, 8
	v_add3_u32 v2, v12, v2, v8
	s_addc_u32 s7, s7, 0
	v_mov_b32_e32 v8, s10
	s_add_u32 s22, s22, 8
	v_mov_b32_e32 v9, s11
	s_addc_u32 s23, s23, 0
	v_cmp_ge_u64_e32 vcc, s[26:27], v[8:9]
	s_add_u32 s24, s24, 8
	v_add3_u32 v6, v11, v6, v10
	s_addc_u32 s25, s25, 0
	s_cbranch_vccnz .LBB0_9
; %bb.7:                                ;   in Loop: Header=BB0_2 Depth=1
	v_mov_b32_e32 v10, v4
	v_mov_b32_e32 v9, v3
	s_branch .LBB0_2
.LBB0_8:
	v_mov_b32_e32 v1, v5
	v_mov_b32_e32 v3, v9
	;; [unrolled: 1-line block ×4, first 2 shown]
.LBB0_9:
	s_load_dwordx2 s[0:1], s[4:5], 0x28
	s_lshl_b64 s[10:11], s[10:11], 3
	s_add_u32 s4, s18, s10
	s_addc_u32 s5, s19, s11
                                        ; implicit-def: $vgpr26
                                        ; implicit-def: $vgpr29
                                        ; implicit-def: $vgpr28
                                        ; implicit-def: $vgpr27
	s_waitcnt lgkmcnt(0)
	v_cmp_gt_u64_e32 vcc, s[0:1], v[3:4]
	v_cmp_le_u64_e64 s[0:1], s[0:1], v[3:4]
	s_and_saveexec_b64 s[6:7], s[0:1]
	s_xor_b64 s[0:1], exec, s[6:7]
; %bb.10:
	s_mov_b32 s6, 0x1b4e81c
	v_mul_hi_u32 v5, v0, s6
	v_mul_u32_u24_e32 v5, 0x96, v5
	v_sub_u32_e32 v26, v0, v5
	v_add_u32_e32 v29, 0x96, v26
	v_add_u32_e32 v28, 0x12c, v26
	;; [unrolled: 1-line block ×3, first 2 shown]
                                        ; implicit-def: $vgpr0
                                        ; implicit-def: $vgpr5_vgpr6
; %bb.11:
	s_or_saveexec_b64 s[6:7], s[0:1]
                                        ; implicit-def: $vgpr11
                                        ; implicit-def: $vgpr9
                                        ; implicit-def: $vgpr15
                                        ; implicit-def: $vgpr13
                                        ; implicit-def: $vgpr7
                                        ; implicit-def: $vgpr17
                                        ; implicit-def: $vgpr19
                                        ; implicit-def: $vgpr21
                                        ; implicit-def: $vgpr23
                                        ; implicit-def: $vgpr25
	s_xor_b64 exec, exec, s[6:7]
	s_cbranch_execz .LBB0_13
; %bb.12:
	s_add_u32 s0, s16, s10
	s_mov_b32 s10, 0x1b4e81c
	v_mul_hi_u32 v7, v0, s10
	s_addc_u32 s1, s17, s11
	s_load_dwordx2 s[0:1], s[0:1], 0x0
	v_lshlrev_b64 v[5:6], 3, v[5:6]
	v_mul_u32_u24_e32 v7, 0x96, v7
	v_sub_u32_e32 v26, v0, v7
	v_mad_u64_u32 v[7:8], s[10:11], s20, v26, 0
	s_waitcnt lgkmcnt(0)
	v_mul_lo_u32 v13, s1, v3
	v_mul_lo_u32 v14, s0, v4
	v_mad_u64_u32 v[9:10], s[0:1], s0, v3, 0
	v_mov_b32_e32 v0, v8
	v_mad_u64_u32 v[11:12], s[0:1], s21, v26, v[0:1]
	v_add3_u32 v10, v10, v14, v13
	v_lshlrev_b64 v[9:10], 3, v[9:10]
	v_mov_b32_e32 v8, v11
	v_mov_b32_e32 v0, s13
	v_add_co_u32_e64 v11, s[0:1], s12, v9
	v_add_u32_e32 v28, 0x12c, v26
	v_addc_co_u32_e64 v0, s[0:1], v0, v10, s[0:1]
	v_mad_u64_u32 v[9:10], s[0:1], s20, v28, 0
	v_add_co_u32_e64 v13, s[0:1], v11, v5
	v_addc_co_u32_e64 v14, s[0:1], v0, v6, s[0:1]
	v_mov_b32_e32 v0, v10
	v_lshlrev_b64 v[5:6], 3, v[7:8]
	v_mad_u64_u32 v[7:8], s[0:1], s21, v28, v[0:1]
	v_add_u32_e32 v8, 0x258, v26
	v_mad_u64_u32 v[11:12], s[0:1], s20, v8, 0
	v_add_co_u32_e64 v30, s[0:1], v13, v5
	v_mov_b32_e32 v10, v7
	v_mov_b32_e32 v0, v12
	v_addc_co_u32_e64 v31, s[0:1], v14, v6, s[0:1]
	v_lshlrev_b64 v[5:6], 3, v[9:10]
	v_mad_u64_u32 v[7:8], s[0:1], s21, v8, v[0:1]
	v_add_u32_e32 v10, 0x384, v26
	v_mad_u64_u32 v[8:9], s[0:1], s20, v10, 0
	v_add_co_u32_e64 v32, s[0:1], v13, v5
	v_mov_b32_e32 v0, v9
	v_addc_co_u32_e64 v33, s[0:1], v14, v6, s[0:1]
	v_mov_b32_e32 v12, v7
	v_mad_u64_u32 v[9:10], s[0:1], s21, v10, v[0:1]
	v_add_u32_e32 v7, 0x4b0, v26
	v_lshlrev_b64 v[5:6], 3, v[11:12]
	v_mad_u64_u32 v[10:11], s[0:1], s20, v7, 0
	v_add_co_u32_e64 v34, s[0:1], v13, v5
	v_mov_b32_e32 v0, v11
	v_addc_co_u32_e64 v35, s[0:1], v14, v6, s[0:1]
	v_lshlrev_b64 v[5:6], 3, v[8:9]
	v_mad_u64_u32 v[7:8], s[0:1], s21, v7, v[0:1]
	v_add_u32_e32 v29, 0x96, v26
	v_mad_u64_u32 v[8:9], s[0:1], s20, v29, 0
	v_add_co_u32_e64 v36, s[0:1], v13, v5
	v_mov_b32_e32 v11, v7
	v_mov_b32_e32 v0, v9
	v_addc_co_u32_e64 v37, s[0:1], v14, v6, s[0:1]
	v_lshlrev_b64 v[5:6], 3, v[10:11]
	v_mad_u64_u32 v[9:10], s[0:1], s21, v29, v[0:1]
	v_add_u32_e32 v27, 0x1c2, v26
	v_mad_u64_u32 v[10:11], s[0:1], s20, v27, 0
	v_add_co_u32_e64 v38, s[0:1], v13, v5
	v_mov_b32_e32 v0, v11
	v_addc_co_u32_e64 v39, s[0:1], v14, v6, s[0:1]
	v_lshlrev_b64 v[5:6], 3, v[8:9]
	v_mad_u64_u32 v[7:8], s[0:1], s21, v27, v[0:1]
	v_add_u32_e32 v12, 0x2ee, v26
	v_mad_u64_u32 v[8:9], s[0:1], s20, v12, 0
	v_add_co_u32_e64 v40, s[0:1], v13, v5
	v_mov_b32_e32 v11, v7
	v_mov_b32_e32 v0, v9
	v_addc_co_u32_e64 v41, s[0:1], v14, v6, s[0:1]
	v_lshlrev_b64 v[5:6], 3, v[10:11]
	v_mad_u64_u32 v[9:10], s[0:1], s21, v12, v[0:1]
	v_add_u32_e32 v7, 0x41a, v26
	v_mad_u64_u32 v[10:11], s[0:1], s20, v7, 0
	v_add_co_u32_e64 v42, s[0:1], v13, v5
	v_mov_b32_e32 v0, v11
	v_addc_co_u32_e64 v43, s[0:1], v14, v6, s[0:1]
	v_lshlrev_b64 v[5:6], 3, v[8:9]
	v_mad_u64_u32 v[7:8], s[0:1], s21, v7, v[0:1]
	v_add_u32_e32 v12, 0x546, v26
	v_mad_u64_u32 v[8:9], s[0:1], s20, v12, 0
	v_add_co_u32_e64 v44, s[0:1], v13, v5
	v_mov_b32_e32 v11, v7
	v_mov_b32_e32 v0, v9
	v_addc_co_u32_e64 v45, s[0:1], v14, v6, s[0:1]
	v_lshlrev_b64 v[5:6], 3, v[10:11]
	v_mad_u64_u32 v[9:10], s[0:1], s21, v12, v[0:1]
	v_add_co_u32_e64 v46, s[0:1], v13, v5
	v_addc_co_u32_e64 v47, s[0:1], v14, v6, s[0:1]
	v_lshlrev_b64 v[5:6], 3, v[8:9]
	v_add_co_u32_e64 v48, s[0:1], v13, v5
	v_addc_co_u32_e64 v49, s[0:1], v14, v6, s[0:1]
	global_load_dwordx2 v[24:25], v[30:31], off
	global_load_dwordx2 v[22:23], v[32:33], off
	;; [unrolled: 1-line block ×10, first 2 shown]
.LBB0_13:
	s_or_b64 exec, exec, s[6:7]
	s_waitcnt vmcnt(6)
	v_add_f32_e32 v5, v18, v20
	v_fma_f32 v5, -0.5, v5, v24
	s_waitcnt vmcnt(5)
	v_sub_f32_e32 v30, v23, v17
	v_mov_b32_e32 v31, v5
	v_fmac_f32_e32 v31, 0x3f737871, v30
	v_sub_f32_e32 v32, v21, v19
	v_sub_f32_e32 v33, v22, v20
	;; [unrolled: 1-line block ×3, first 2 shown]
	v_fmac_f32_e32 v5, 0xbf737871, v30
	v_fmac_f32_e32 v31, 0x3f167918, v32
	v_add_f32_e32 v33, v34, v33
	v_fmac_f32_e32 v5, 0xbf167918, v32
	v_fmac_f32_e32 v31, 0x3e9e377a, v33
	;; [unrolled: 1-line block ×3, first 2 shown]
	v_add_f32_e32 v33, v16, v22
	v_add_f32_e32 v0, v22, v24
	v_fmac_f32_e32 v24, -0.5, v33
	v_mov_b32_e32 v33, v24
	v_fmac_f32_e32 v33, 0xbf737871, v32
	v_fmac_f32_e32 v24, 0x3f737871, v32
	;; [unrolled: 1-line block ×4, first 2 shown]
	s_waitcnt vmcnt(3)
	v_add_f32_e32 v30, v12, v6
	s_waitcnt vmcnt(2)
	v_add_f32_e32 v30, v14, v30
	v_sub_f32_e32 v34, v20, v22
	v_sub_f32_e32 v35, v18, v16
	s_waitcnt vmcnt(1)
	v_add_f32_e32 v30, v8, v30
	v_add_f32_e32 v0, v20, v0
	;; [unrolled: 1-line block ×3, first 2 shown]
	s_waitcnt vmcnt(0)
	v_add_f32_e32 v32, v10, v30
	v_add_f32_e32 v30, v8, v14
	;; [unrolled: 1-line block ×3, first 2 shown]
	v_fmac_f32_e32 v33, 0x3e9e377a, v34
	v_fmac_f32_e32 v24, 0x3e9e377a, v34
	v_fma_f32 v34, -0.5, v30, v6
	v_add_f32_e32 v0, v16, v0
	v_sub_f32_e32 v35, v13, v11
	v_mad_u32_u24 v30, v26, 20, 0
	v_mov_b32_e32 v36, v34
	ds_write2_b32 v30, v0, v31 offset1:1
	v_sub_f32_e32 v0, v12, v14
	v_sub_f32_e32 v31, v10, v8
	v_fmac_f32_e32 v36, 0x3f737871, v35
	ds_write2_b32 v30, v33, v24 offset0:2 offset1:3
	v_sub_f32_e32 v24, v15, v9
	v_add_f32_e32 v31, v31, v0
	v_fmac_f32_e32 v36, 0x3f167918, v24
	ds_write_b32 v30, v5 offset:16
	v_add_f32_e32 v5, v19, v21
	v_fmac_f32_e32 v36, 0x3e9e377a, v31
	v_mad_i32_i24 v0, v29, 20, 0
	v_fma_f32 v37, -0.5, v5, v25
	v_add_f32_e32 v5, v17, v23
	ds_write2_b32 v0, v32, v36 offset1:1
	v_add_f32_e32 v36, v23, v25
	v_fmac_f32_e32 v25, -0.5, v5
	v_sub_f32_e32 v38, v20, v18
	v_mov_b32_e32 v39, v25
	v_sub_f32_e32 v5, v21, v23
	v_sub_f32_e32 v32, v19, v17
	v_fmac_f32_e32 v39, 0x3f737871, v38
	v_sub_f32_e32 v40, v22, v16
	v_fmac_f32_e32 v25, 0xbf737871, v38
	v_add_f32_e32 v5, v32, v5
	v_fmac_f32_e32 v39, 0xbf167918, v40
	v_fmac_f32_e32 v25, 0x3f167918, v40
	v_fmac_f32_e32 v39, 0x3e9e377a, v5
	v_fmac_f32_e32 v25, 0x3e9e377a, v5
	v_add_f32_e32 v5, v10, v12
	v_fmac_f32_e32 v6, -0.5, v5
	v_sub_f32_e32 v5, v14, v12
	v_sub_f32_e32 v16, v8, v10
	v_add_f32_e32 v5, v16, v5
	v_mov_b32_e32 v16, v6
	v_fmac_f32_e32 v16, 0xbf737871, v24
	v_fmac_f32_e32 v6, 0x3f737871, v24
	;; [unrolled: 1-line block ×6, first 2 shown]
	v_sub_f32_e32 v23, v23, v21
	v_add_f32_e32 v21, v21, v36
	v_fmac_f32_e32 v34, 0xbf737871, v35
	ds_write2_b32 v0, v16, v6 offset0:2 offset1:3
	v_lshlrev_b32_e32 v6, 4, v26
	v_add_f32_e32 v21, v19, v21
	v_fmac_f32_e32 v34, 0xbf167918, v24
	v_sub_u32_e32 v18, v30, v6
	v_lshlrev_b32_e32 v16, 4, v29
	v_sub_f32_e32 v19, v17, v19
	v_add_f32_e32 v17, v17, v21
	v_add_f32_e32 v21, v13, v7
	v_fmac_f32_e32 v34, 0x3e9e377a, v31
	v_sub_u32_e32 v20, v0, v16
	v_lshl_add_u32 v24, v28, 2, 0
	v_add_u32_e32 v32, 0x800, v18
	v_add_f32_e32 v21, v15, v21
	s_load_dwordx2 s[4:5], s[4:5], 0x0
	ds_write_b32 v0, v34 offset:16
	s_waitcnt lgkmcnt(0)
	s_barrier
	ds_read_b32 v50, v24
	v_lshl_add_u32 v22, v27, 2, 0
	ds_read_b32 v51, v20
	ds_read_b32 v33, v18
	;; [unrolled: 1-line block ×3, first 2 shown]
	v_add_u32_e32 v31, 0xe00, v18
	v_add_u32_e32 v5, 0x1200, v18
	ds_read2_b32 v[42:43], v32 offset0:88 offset1:238
	ds_read2_b32 v[44:45], v31 offset0:4 offset1:154
	;; [unrolled: 1-line block ×3, first 2 shown]
	s_waitcnt lgkmcnt(0)
	s_barrier
	ds_write2_b32 v30, v39, v25 offset0:2 offset1:3
	v_add_f32_e32 v25, v9, v15
	v_sub_f32_e32 v8, v14, v8
	v_sub_f32_e32 v14, v13, v15
	;; [unrolled: 1-line block ×4, first 2 shown]
	v_add_f32_e32 v12, v11, v13
	v_add_f32_e32 v13, v9, v21
	v_sub_f32_e32 v21, v11, v9
	v_sub_f32_e32 v9, v9, v11
	v_add_f32_e32 v11, v11, v13
	v_add_f32_e32 v13, v19, v23
	v_mov_b32_e32 v19, v37
	v_fmac_f32_e32 v19, 0xbf737871, v40
	v_fmac_f32_e32 v37, 0x3f737871, v40
	v_fmac_f32_e32 v19, 0xbf167918, v38
	v_fmac_f32_e32 v37, 0x3f167918, v38
	v_fmac_f32_e32 v19, 0x3e9e377a, v13
	v_fmac_f32_e32 v37, 0x3e9e377a, v13
	v_add_f32_e32 v13, v21, v14
	v_fma_f32 v14, -0.5, v25, v7
	v_fmac_f32_e32 v7, -0.5, v12
	ds_write2_b32 v30, v17, v19 offset1:1
	v_mov_b32_e32 v17, v14
	v_mov_b32_e32 v12, v7
	v_fmac_f32_e32 v7, 0xbf737871, v8
	v_fmac_f32_e32 v17, 0xbf737871, v10
	;; [unrolled: 1-line block ×3, first 2 shown]
	v_add_f32_e32 v9, v9, v15
	v_fmac_f32_e32 v12, 0x3f737871, v8
	v_fmac_f32_e32 v7, 0x3f167918, v10
	;; [unrolled: 1-line block ×6, first 2 shown]
	s_movk_i32 s0, 0xcd
	v_fmac_f32_e32 v17, 0x3e9e377a, v13
	v_fmac_f32_e32 v14, 0x3e9e377a, v13
	;; [unrolled: 1-line block ×3, first 2 shown]
	ds_write_b32 v30, v37 offset:16
	ds_write2_b32 v0, v11, v17 offset1:1
	ds_write2_b32 v0, v12, v7 offset0:2 offset1:3
	ds_write_b32 v0, v14 offset:16
	v_mul_lo_u16_sdwa v7, v26, s0 dst_sel:DWORD dst_unused:UNUSED_PAD src0_sel:BYTE_0 src1_sel:DWORD
	v_lshrrev_b16_e32 v17, 10, v7
	v_mul_lo_u16_e32 v7, 5, v17
	v_sub_u16_e32 v19, v26, v7
	v_mov_b32_e32 v7, 9
	v_mul_u32_u24_sdwa v8, v19, v7 dst_sel:DWORD dst_unused:UNUSED_PAD src0_sel:BYTE_0 src1_sel:DWORD
	v_lshlrev_b32_e32 v21, 3, v8
	s_waitcnt lgkmcnt(0)
	s_barrier
	global_load_dwordx4 v[8:11], v21, s[8:9]
	global_load_dwordx4 v[12:15], v21, s[8:9] offset:16
	global_load_dwordx4 v[34:37], v21, s[8:9] offset:32
	;; [unrolled: 1-line block ×3, first 2 shown]
	global_load_dwordx2 v[48:49], v21, s[8:9] offset:64
	ds_read_b32 v21, v20
	ds_read_b32 v23, v24
	;; [unrolled: 1-line block ×4, first 2 shown]
	v_mov_b32_e32 v58, 2
	v_mul_u32_u24_e32 v17, 0xc8, v17
	v_lshlrev_b32_sdwa v19, v58, v19 dst_sel:DWORD dst_unused:UNUSED_PAD src0_sel:DWORD src1_sel:BYTE_0
	v_add3_u32 v17, 0, v17, v19
	s_mov_b32 s1, 0x3f167918
	s_mov_b32 s0, 0x3f737871
	;; [unrolled: 1-line block ×4, first 2 shown]
	v_sub_u32_e32 v6, 0, v6
	s_waitcnt vmcnt(4) lgkmcnt(3)
	v_mul_f32_e32 v53, v21, v9
	v_mul_f32_e32 v56, v51, v9
	v_fma_f32 v55, v51, v8, -v53
	v_fmac_f32_e32 v56, v21, v8
	s_waitcnt lgkmcnt(2)
	v_mul_f32_e32 v8, v23, v11
	v_fma_f32 v21, v50, v10, -v8
	ds_read2_b32 v[8:9], v32 offset0:88 offset1:238
	v_mul_f32_e32 v57, v50, v11
	v_fmac_f32_e32 v57, v23, v10
	s_waitcnt vmcnt(3) lgkmcnt(2)
	v_mul_f32_e32 v10, v25, v13
	v_fma_f32 v23, v52, v12, -v10
	v_mul_f32_e32 v13, v52, v13
	s_waitcnt lgkmcnt(0)
	v_mul_f32_e32 v10, v8, v15
	v_fmac_f32_e32 v13, v25, v12
	v_fma_f32 v12, v42, v14, -v10
	ds_read2_b32 v[10:11], v31 offset0:4 offset1:154
	v_mul_f32_e32 v15, v42, v15
	v_fmac_f32_e32 v15, v8, v14
	s_waitcnt vmcnt(2)
	v_mul_f32_e32 v8, v9, v35
	v_fma_f32 v14, v43, v34, -v8
	v_mul_f32_e32 v25, v43, v35
	s_waitcnt lgkmcnt(0)
	v_mul_f32_e32 v8, v10, v37
	v_fmac_f32_e32 v25, v9, v34
	v_fma_f32 v34, v44, v36, -v8
	ds_read2_b32 v[8:9], v5 offset0:48 offset1:198
	v_mul_f32_e32 v35, v44, v37
	v_fmac_f32_e32 v35, v10, v36
	s_waitcnt vmcnt(1)
	v_mul_f32_e32 v36, v45, v39
	v_mul_f32_e32 v10, v11, v39
	v_fmac_f32_e32 v36, v11, v38
	s_waitcnt lgkmcnt(0)
	v_mul_f32_e32 v11, v8, v41
	v_mul_f32_e32 v37, v46, v41
	v_fma_f32 v10, v45, v38, -v10
	v_fma_f32 v11, v46, v40, -v11
	v_fmac_f32_e32 v37, v8, v40
	s_waitcnt vmcnt(0)
	v_mul_f32_e32 v8, v9, v49
	v_mul_f32_e32 v38, v47, v49
	v_fma_f32 v8, v47, v48, -v8
	v_fmac_f32_e32 v38, v9, v48
	v_sub_f32_e32 v9, v21, v12
	v_sub_f32_e32 v39, v11, v34
	v_add_f32_e32 v9, v9, v39
	v_sub_f32_e32 v39, v23, v14
	v_sub_f32_e32 v40, v8, v10
	v_add_f32_e32 v50, v25, v36
	v_add_f32_e32 v39, v39, v40
	v_sub_f32_e32 v40, v13, v25
	v_sub_f32_e32 v41, v38, v36
	v_add_f32_e32 v46, v14, v10
	v_fma_f32 v59, -0.5, v50, v56
	v_add_f32_e32 v40, v40, v41
	v_add_f32_e32 v41, v12, v34
	v_fma_f32 v46, -0.5, v46, v55
	v_sub_f32_e32 v50, v23, v8
	v_mov_b32_e32 v51, v59
	v_fma_f32 v41, -0.5, v41, v33
	v_sub_f32_e32 v47, v13, v38
	v_mov_b32_e32 v48, v46
	v_fmac_f32_e32 v51, 0xbf737871, v50
	v_sub_f32_e32 v52, v14, v10
	v_add_f32_e32 v19, v33, v21
	v_sub_f32_e32 v42, v57, v37
	v_mov_b32_e32 v43, v41
	v_add_f32_e32 v45, v55, v23
	v_fmac_f32_e32 v48, 0x3f737871, v47
	v_sub_f32_e32 v49, v25, v36
	v_fmac_f32_e32 v51, 0xbf167918, v52
	v_add_f32_e32 v19, v19, v12
	v_fmac_f32_e32 v43, 0x3f737871, v42
	v_sub_f32_e32 v44, v15, v35
	v_add_f32_e32 v45, v45, v14
	v_fmac_f32_e32 v48, 0x3f167918, v49
	v_fmac_f32_e32 v51, 0x3e9e377a, v40
	v_add_f32_e32 v19, v19, v34
	v_fmac_f32_e32 v43, 0x3f167918, v44
	v_add_f32_e32 v45, v45, v10
	v_fmac_f32_e32 v48, 0x3e9e377a, v39
	v_mul_f32_e32 v53, 0x3f167918, v51
	v_add_f32_e32 v19, v19, v11
	v_fmac_f32_e32 v43, 0x3e9e377a, v9
	v_add_f32_e32 v45, v45, v8
	v_fmac_f32_e32 v53, 0x3f4f1bbd, v48
	v_add_f32_e32 v60, v19, v45
	v_add_f32_e32 v61, v43, v53
	s_barrier
	ds_write2_b32 v17, v60, v61 offset1:5
	v_add_f32_e32 v60, v21, v11
	v_fmac_f32_e32 v33, -0.5, v60
	v_sub_f32_e32 v60, v12, v21
	v_sub_f32_e32 v61, v34, v11
	v_add_f32_e32 v60, v60, v61
	v_mov_b32_e32 v61, v33
	v_fmac_f32_e32 v61, 0xbf737871, v44
	v_fmac_f32_e32 v33, 0x3f737871, v44
	;; [unrolled: 1-line block ×6, first 2 shown]
	v_add_f32_e32 v60, v23, v8
	v_fmac_f32_e32 v55, -0.5, v60
	v_sub_f32_e32 v8, v10, v8
	v_mov_b32_e32 v10, v55
	v_sub_f32_e32 v14, v14, v23
	v_fmac_f32_e32 v10, 0xbf737871, v49
	v_fmac_f32_e32 v55, 0x3f737871, v49
	v_add_f32_e32 v8, v14, v8
	v_fmac_f32_e32 v10, 0x3f167918, v47
	v_fmac_f32_e32 v55, 0xbf167918, v47
	v_add_f32_e32 v14, v13, v38
	;; [unrolled: 3-line block ×3, first 2 shown]
	v_fmac_f32_e32 v56, -0.5, v14
	v_mov_b32_e32 v23, v56
	v_fmac_f32_e32 v46, 0xbf737871, v47
	v_sub_f32_e32 v13, v25, v13
	v_sub_f32_e32 v14, v36, v38
	v_fmac_f32_e32 v23, 0x3f737871, v52
	v_fmac_f32_e32 v41, 0xbf737871, v42
	v_fmac_f32_e32 v46, 0xbf167918, v49
	v_fmac_f32_e32 v59, 0x3f737871, v50
	v_add_f32_e32 v13, v13, v14
	v_fmac_f32_e32 v23, 0xbf167918, v50
	v_fmac_f32_e32 v56, 0xbf737871, v52
	v_fmac_f32_e32 v41, 0xbf167918, v44
	v_fmac_f32_e32 v46, 0x3e9e377a, v39
	v_fmac_f32_e32 v59, 0x3f167918, v52
	v_fmac_f32_e32 v23, 0x3e9e377a, v13
	v_fmac_f32_e32 v56, 0x3f167918, v50
	v_fmac_f32_e32 v41, 0x3e9e377a, v9
	v_fmac_f32_e32 v59, 0x3e9e377a, v40
	v_sub_f32_e32 v9, v19, v45
	v_mul_f32_e32 v19, 0x3f4f1bbd, v46
	v_fmac_f32_e32 v56, 0x3e9e377a, v13
	v_mul_f32_e32 v13, 0x3f737871, v23
	v_fma_f32 v19, v59, s1, -v19
	v_fmac_f32_e32 v13, 0x3e9e377a, v10
	v_mul_f32_e32 v14, 0x3e9e377a, v55
	v_add_f32_e32 v39, v41, v19
	v_fma_f32 v14, v56, s0, -v14
	v_add_f32_e32 v60, v61, v13
	ds_write2_b32 v17, v39, v9 offset0:20 offset1:25
	v_sub_f32_e32 v9, v43, v53
	v_sub_f32_e32 v13, v61, v13
	ds_write2_b32 v17, v9, v13 offset0:30 offset1:35
	v_sub_f32_e32 v9, v33, v14
	v_sub_f32_e32 v13, v41, v19
	;; [unrolled: 3-line block ×3, first 2 shown]
	v_sub_f32_e32 v12, v57, v15
	v_sub_f32_e32 v13, v37, v35
	v_add_f32_e32 v12, v12, v13
	v_add_f32_e32 v13, v54, v57
	;; [unrolled: 1-line block ×7, first 2 shown]
	v_fma_f32 v25, -0.5, v13, v54
	v_add_f32_e32 v62, v33, v14
	v_mov_b32_e32 v33, v25
	v_fmac_f32_e32 v33, 0xbf737871, v9
	v_add_f32_e32 v8, v8, v36
	v_mul_f32_e32 v19, 0xbf167918, v48
	v_fmac_f32_e32 v33, 0xbf167918, v11
	v_add_f32_e32 v8, v8, v38
	v_fmac_f32_e32 v19, 0x3f4f1bbd, v51
	v_fmac_f32_e32 v33, 0x3e9e377a, v12
	v_add_f32_e32 v34, v21, v8
	v_add_f32_e32 v36, v33, v19
	ds_write2_b32 v17, v60, v62 offset0:10 offset1:15
	s_waitcnt lgkmcnt(0)
	s_barrier
	ds_read_b32 v38, v24
	ds_read_b32 v39, v20
	;; [unrolled: 1-line block ×4, first 2 shown]
	ds_read2_b32 v[13:14], v32 offset0:88 offset1:238
	ds_read2_b32 v[50:51], v31 offset0:4 offset1:154
	;; [unrolled: 1-line block ×3, first 2 shown]
	s_waitcnt lgkmcnt(0)
	s_barrier
	ds_write2_b32 v17, v34, v36 offset1:5
	v_add_f32_e32 v34, v57, v37
	v_fmac_f32_e32 v54, -0.5, v34
	v_sub_f32_e32 v15, v15, v57
	v_sub_f32_e32 v34, v35, v37
	v_add_f32_e32 v15, v15, v34
	v_mov_b32_e32 v34, v54
	v_fmac_f32_e32 v34, 0x3f737871, v11
	v_fmac_f32_e32 v54, 0xbf737871, v11
	;; [unrolled: 1-line block ×6, first 2 shown]
	v_mul_f32_e32 v9, 0x3f4f1bbd, v59
	v_fmac_f32_e32 v34, 0x3e9e377a, v15
	v_fmac_f32_e32 v54, 0x3e9e377a, v15
	v_mul_f32_e32 v10, 0xbf737871, v10
	v_mul_f32_e32 v15, 0x3e9e377a, v56
	v_fmac_f32_e32 v25, 0x3e9e377a, v12
	v_fma_f32 v9, v46, s11, -v9
	v_fmac_f32_e32 v10, 0x3e9e377a, v23
	v_fma_f32 v15, v55, s10, -v15
	v_sub_f32_e32 v8, v21, v8
	v_add_f32_e32 v11, v25, v9
	v_add_f32_e32 v23, v34, v10
	;; [unrolled: 1-line block ×3, first 2 shown]
	ds_write2_b32 v17, v11, v8 offset0:20 offset1:25
	v_sub_f32_e32 v8, v33, v19
	v_sub_f32_e32 v10, v34, v10
	ds_write2_b32 v17, v23, v35 offset0:10 offset1:15
	v_sub_f32_e32 v11, v54, v15
	v_sub_f32_e32 v9, v25, v9
	ds_write2_b32 v17, v8, v10 offset0:30 offset1:35
	ds_write2_b32 v17, v11, v9 offset0:40 offset1:45
	v_mov_b32_e32 v8, 41
	v_mul_lo_u16_sdwa v8, v26, v8 dst_sel:DWORD dst_unused:UNUSED_PAD src0_sel:BYTE_0 src1_sel:DWORD
	v_lshrrev_b16_e32 v21, 11, v8
	v_mul_lo_u16_e32 v8, 50, v21
	v_sub_u16_e32 v23, v26, v8
	v_mul_u32_u24_sdwa v7, v23, v7 dst_sel:DWORD dst_unused:UNUSED_PAD src0_sel:BYTE_0 src1_sel:DWORD
	v_lshlrev_b32_e32 v7, 3, v7
	s_waitcnt lgkmcnt(0)
	s_barrier
	global_load_dwordx4 v[9:12], v7, s[8:9] offset:360
	global_load_dwordx4 v[34:37], v7, s[8:9] offset:376
	;; [unrolled: 1-line block ×4, first 2 shown]
	global_load_dwordx2 v[54:55], v7, s[8:9] offset:424
	ds_read_b32 v17, v20
	ds_read_b32 v25, v24
	;; [unrolled: 1-line block ×4, first 2 shown]
	v_mul_u32_u24_e32 v21, 0x7d0, v21
	s_waitcnt vmcnt(4) lgkmcnt(3)
	v_mul_f32_e32 v8, v17, v10
	v_mul_f32_e32 v15, v39, v10
	v_fma_f32 v8, v39, v9, -v8
	v_fmac_f32_e32 v15, v17, v9
	s_waitcnt lgkmcnt(2)
	v_mul_f32_e32 v9, v25, v12
	v_fma_f32 v39, v38, v11, -v9
	ds_read2_b32 v[9:10], v32 offset0:88 offset1:238
	v_mul_f32_e32 v19, v38, v12
	v_fmac_f32_e32 v19, v25, v11
	s_waitcnt vmcnt(3) lgkmcnt(2)
	v_mul_f32_e32 v11, v33, v35
	v_fma_f32 v25, v40, v34, -v11
	s_waitcnt lgkmcnt(0)
	v_mul_f32_e32 v11, v9, v37
	v_fma_f32 v41, v13, v36, -v11
	ds_read2_b32 v[11:12], v31 offset0:4 offset1:154
	v_mul_f32_e32 v17, v40, v35
	v_mul_f32_e32 v35, v13, v37
	v_fmac_f32_e32 v35, v9, v36
	s_waitcnt vmcnt(2)
	v_mul_f32_e32 v9, v10, v43
	v_fmac_f32_e32 v17, v33, v34
	v_fma_f32 v13, v14, v42, -v9
	v_mul_f32_e32 v33, v14, v43
	s_waitcnt lgkmcnt(0)
	v_mul_f32_e32 v9, v11, v45
	v_fmac_f32_e32 v33, v10, v42
	v_fma_f32 v43, v50, v44, -v9
	ds_read2_b32 v[9:10], v5 offset0:48 offset1:198
	v_mul_f32_e32 v37, v50, v45
	v_fmac_f32_e32 v37, v11, v44
	s_waitcnt vmcnt(1)
	v_mul_f32_e32 v5, v12, v47
	v_mul_f32_e32 v36, v51, v47
	s_waitcnt lgkmcnt(0)
	v_mul_f32_e32 v11, v9, v49
	v_mul_f32_e32 v40, v52, v49
	v_fma_f32 v5, v51, v46, -v5
	v_fmac_f32_e32 v36, v12, v46
	v_fma_f32 v46, v52, v48, -v11
	v_fmac_f32_e32 v40, v9, v48
	s_waitcnt vmcnt(0)
	v_mul_f32_e32 v9, v10, v55
	v_mul_f32_e32 v38, v53, v55
	v_fma_f32 v9, v53, v54, -v9
	v_fmac_f32_e32 v38, v10, v54
	v_sub_f32_e32 v10, v39, v41
	v_sub_f32_e32 v11, v46, v43
	v_add_f32_e32 v42, v8, v25
	v_add_f32_e32 v10, v10, v11
	v_sub_f32_e32 v11, v25, v13
	v_sub_f32_e32 v12, v9, v5
	v_add_f32_e32 v42, v42, v13
	v_add_f32_e32 v11, v11, v12
	;; [unrolled: 4-line block ×3, first 2 shown]
	v_add_f32_e32 v12, v12, v14
	v_lshlrev_b32_sdwa v14, v58, v23 dst_sel:DWORD dst_unused:UNUSED_PAD src0_sel:DWORD src1_sel:BYTE_0
	v_add_f32_e32 v51, v42, v9
	v_add_f32_e32 v42, v13, v5
	v_fma_f32 v44, -0.5, v44, v15
	v_add3_u32 v34, 0, v21, v14
	v_add_f32_e32 v21, v41, v43
	v_fma_f32 v42, -0.5, v42, v8
	v_sub_f32_e32 v54, v25, v9
	v_mov_b32_e32 v47, v44
	v_fma_f32 v21, -0.5, v21, v60
	v_sub_f32_e32 v52, v17, v38
	v_mov_b32_e32 v45, v42
	v_fmac_f32_e32 v47, 0xbf737871, v54
	v_sub_f32_e32 v55, v13, v5
	v_add_f32_e32 v14, v60, v39
	v_sub_f32_e32 v23, v19, v40
	v_mov_b32_e32 v31, v21
	v_fmac_f32_e32 v45, 0x3f737871, v52
	v_sub_f32_e32 v53, v33, v36
	v_fmac_f32_e32 v47, 0xbf167918, v55
	v_add_f32_e32 v14, v14, v41
	v_fmac_f32_e32 v31, 0x3f737871, v23
	v_sub_f32_e32 v32, v35, v37
	v_fmac_f32_e32 v45, 0x3f167918, v53
	v_fmac_f32_e32 v47, 0x3e9e377a, v12
	v_add_f32_e32 v14, v14, v43
	v_fmac_f32_e32 v31, 0x3f167918, v32
	v_fmac_f32_e32 v45, 0x3e9e377a, v11
	v_mul_f32_e32 v56, 0x3f167918, v47
	v_add_f32_e32 v14, v14, v46
	v_fmac_f32_e32 v31, 0x3e9e377a, v10
	v_fmac_f32_e32 v56, 0x3f4f1bbd, v45
	v_add_f32_e32 v48, v14, v51
	v_add_f32_e32 v49, v31, v56
	s_barrier
	ds_write2_b32 v34, v48, v49 offset1:50
	v_add_f32_e32 v48, v39, v46
	v_fmac_f32_e32 v60, -0.5, v48
	v_mov_b32_e32 v57, v60
	v_sub_f32_e32 v48, v41, v39
	v_sub_f32_e32 v49, v43, v46
	v_fmac_f32_e32 v57, 0xbf737871, v32
	v_fmac_f32_e32 v60, 0x3f737871, v32
	v_add_f32_e32 v48, v48, v49
	v_fmac_f32_e32 v57, 0x3f167918, v23
	v_fmac_f32_e32 v60, 0xbf167918, v23
	;; [unrolled: 1-line block ×4, first 2 shown]
	v_add_f32_e32 v48, v25, v9
	v_fmac_f32_e32 v8, -0.5, v48
	v_mov_b32_e32 v48, v8
	v_sub_f32_e32 v13, v13, v25
	v_sub_f32_e32 v5, v5, v9
	v_fmac_f32_e32 v48, 0xbf737871, v53
	v_fmac_f32_e32 v8, 0x3f737871, v53
	v_add_f32_e32 v5, v13, v5
	v_fmac_f32_e32 v48, 0x3f167918, v52
	v_fmac_f32_e32 v8, 0xbf167918, v52
	;; [unrolled: 1-line block ×4, first 2 shown]
	v_sub_f32_e32 v5, v33, v17
	v_sub_f32_e32 v9, v36, v38
	v_add_f32_e32 v5, v5, v9
	v_add_f32_e32 v9, v17, v38
	v_fma_f32 v49, -0.5, v9, v15
	v_mov_b32_e32 v50, v49
	v_fmac_f32_e32 v42, 0xbf737871, v52
	v_fmac_f32_e32 v50, 0x3f737871, v55
	;; [unrolled: 1-line block ×13, first 2 shown]
	v_mul_f32_e32 v11, 0x3f4f1bbd, v42
	v_fmac_f32_e32 v49, 0x3e9e377a, v5
	v_mul_f32_e32 v5, 0x3f737871, v50
	v_fmac_f32_e32 v21, 0x3e9e377a, v10
	v_fma_f32 v11, v44, s1, -v11
	v_fmac_f32_e32 v5, 0x3e9e377a, v48
	v_mul_f32_e32 v9, 0x3e9e377a, v8
	v_sub_f32_e32 v10, v14, v51
	v_add_f32_e32 v12, v21, v11
	v_fma_f32 v9, v49, s0, -v9
	v_add_f32_e32 v13, v57, v5
	ds_write2_b32 v34, v12, v10 offset0:200 offset1:250
	v_sub_f32_e32 v10, v31, v56
	v_sub_f32_e32 v5, v57, v5
	v_add_u32_e32 v51, 0x400, v34
	v_add_f32_e32 v25, v60, v9
	ds_write2_b32 v51, v10, v5 offset0:44 offset1:94
	v_sub_f32_e32 v9, v60, v9
	v_sub_f32_e32 v5, v21, v11
	ds_write2_b32 v34, v13, v25 offset0:100 offset1:150
	ds_write2_b32 v51, v9, v5 offset0:144 offset1:194
	v_add_u32_e32 v9, 0x700, v18
	v_add_u32_e32 v11, 0xc00, v18
	;; [unrolled: 1-line block ×3, first 2 shown]
	s_waitcnt lgkmcnt(0)
	s_barrier
	ds_read2_b32 v[9:10], v9 offset0:52 offset1:202
	ds_read2_b32 v[11:12], v11 offset0:32 offset1:232
	;; [unrolled: 1-line block ×3, first 2 shown]
	ds_read_b32 v31, v20
	ds_read_b32 v25, v18
	;; [unrolled: 1-line block ×3, first 2 shown]
	v_add_u32_e32 v52, v30, v6
	v_sub_u32_e32 v20, 0, v16
	v_cmp_gt_u32_e64 s[0:1], 50, v26
                                        ; implicit-def: $vgpr21
                                        ; implicit-def: $vgpr23
	s_and_saveexec_b64 s[6:7], s[0:1]
	s_cbranch_execz .LBB0_15
; %bb.14:
	ds_read_b32 v5, v22
	ds_read_b32 v23, v52 offset:3800
	ds_read_b32 v21, v52 offset:5800
.LBB0_15:
	s_or_b64 exec, exec, s[6:7]
	v_add_f32_e32 v16, v35, v37
	v_fma_f32 v16, -0.5, v16, v7
	v_sub_f32_e32 v18, v39, v46
	v_mov_b32_e32 v30, v16
	v_fmac_f32_e32 v30, 0xbf737871, v18
	v_sub_f32_e32 v39, v41, v43
	v_sub_f32_e32 v41, v19, v35
	;; [unrolled: 1-line block ×3, first 2 shown]
	v_fmac_f32_e32 v16, 0x3f737871, v18
	v_fmac_f32_e32 v30, 0xbf167918, v39
	v_add_f32_e32 v41, v41, v43
	v_fmac_f32_e32 v16, 0x3f167918, v39
	v_fmac_f32_e32 v30, 0x3e9e377a, v41
	;; [unrolled: 1-line block ×3, first 2 shown]
	v_add_f32_e32 v41, v19, v40
	v_add_f32_e32 v6, v7, v19
	v_fmac_f32_e32 v7, -0.5, v41
	v_mov_b32_e32 v41, v7
	v_add_f32_e32 v15, v15, v17
	v_add_f32_e32 v6, v6, v35
	v_fmac_f32_e32 v41, 0x3f737871, v39
	v_sub_f32_e32 v19, v35, v19
	v_sub_f32_e32 v35, v37, v40
	v_fmac_f32_e32 v7, 0xbf737871, v39
	v_add_f32_e32 v15, v15, v33
	v_add_f32_e32 v6, v6, v37
	v_fmac_f32_e32 v41, 0xbf167918, v18
	v_add_f32_e32 v19, v19, v35
	v_fmac_f32_e32 v7, 0x3f167918, v18
	v_add_f32_e32 v15, v15, v36
	v_mul_f32_e32 v18, 0xbf167918, v45
	v_mul_f32_e32 v36, 0x3e9e377a, v49
	v_add_f32_e32 v6, v6, v40
	v_fmac_f32_e32 v7, 0x3e9e377a, v19
	v_add_f32_e32 v15, v15, v38
	v_fmac_f32_e32 v18, 0x3f4f1bbd, v47
	v_mul_f32_e32 v33, 0xbf737871, v48
	v_fma_f32 v8, v8, s10, -v36
	v_mul_f32_e32 v37, 0x3f4f1bbd, v44
	v_fmac_f32_e32 v41, 0x3e9e377a, v19
	v_add_f32_e32 v17, v6, v15
	v_add_f32_e32 v19, v30, v18
	v_fmac_f32_e32 v33, 0x3e9e377a, v50
	v_add_f32_e32 v36, v7, v8
	v_fma_f32 v37, v42, s11, -v37
	v_sub_f32_e32 v7, v7, v8
	v_add_f32_e32 v35, v41, v33
	v_add_f32_e32 v38, v16, v37
	v_sub_f32_e32 v15, v6, v15
	v_sub_f32_e32 v18, v30, v18
	;; [unrolled: 1-line block ×4, first 2 shown]
	s_waitcnt lgkmcnt(0)
	s_barrier
	ds_write2_b32 v34, v17, v19 offset1:50
	ds_write2_b32 v34, v35, v36 offset0:100 offset1:150
	ds_write2_b32 v34, v38, v15 offset0:200 offset1:250
	;; [unrolled: 1-line block ×4, first 2 shown]
	v_add_u32_e32 v7, 0x700, v52
	s_waitcnt lgkmcnt(0)
	s_barrier
	ds_read2_b32 v[15:16], v7 offset0:52 offset1:202
	v_add_u32_e32 v7, 0xc00, v52
	ds_read2_b32 v[17:18], v7 offset0:32 offset1:232
	v_add_u32_e32 v7, 0x1100, v52
	v_add_u32_e32 v0, v0, v20
	ds_read2_b32 v[19:20], v7 offset0:62 offset1:212
	ds_read_b32 v30, v52
	ds_read_b32 v33, v0
	;; [unrolled: 1-line block ×3, first 2 shown]
                                        ; implicit-def: $vgpr0
                                        ; implicit-def: $vgpr24
	s_and_saveexec_b64 s[6:7], s[0:1]
	s_cbranch_execz .LBB0_17
; %bb.16:
	ds_read_b32 v6, v22
	ds_read_b32 v24, v52 offset:3800
	ds_read_b32 v0, v52 offset:5800
.LBB0_17:
	s_or_b64 exec, exec, s[6:7]
	s_and_saveexec_b64 s[6:7], vcc
	s_cbranch_execz .LBB0_20
; %bb.18:
	v_lshlrev_b32_e32 v7, 1, v28
	v_mov_b32_e32 v8, 0
	v_lshlrev_b64 v[35:36], 3, v[7:8]
	v_lshlrev_b32_e32 v7, 1, v29
	v_mov_b32_e32 v22, s9
	v_add_co_u32_e32 v35, vcc, s8, v35
	v_lshlrev_b64 v[28:29], 3, v[7:8]
	v_addc_co_u32_e32 v36, vcc, v22, v36, vcc
	v_add_co_u32_e32 v28, vcc, s8, v28
	v_addc_co_u32_e32 v29, vcc, v22, v29, vcc
	v_lshlrev_b32_e32 v7, 1, v26
	global_load_dwordx4 v[35:38], v[35:36], off offset:3960
	s_mov_b32 s6, 0x10624dd3
	global_load_dwordx4 v[39:42], v[28:29], off offset:3960
	v_lshlrev_b64 v[28:29], 3, v[7:8]
	v_mul_lo_u32 v7, s5, v3
	v_add_co_u32_e32 v28, vcc, s8, v28
	v_addc_co_u32_e32 v29, vcc, v22, v29, vcc
	global_load_dwordx4 v[43:46], v[28:29], off offset:3960
	v_mul_lo_u32 v22, s4, v4
	v_mad_u64_u32 v[3:4], s[4:5], s4, v3, 0
	v_lshlrev_b64 v[1:2], 3, v[1:2]
	s_movk_i32 s10, 0x5dc
	v_add3_u32 v4, v4, v22, v7
	v_lshlrev_b64 v[3:4], 3, v[3:4]
	s_movk_i32 s7, 0x1f4
	s_waitcnt vmcnt(2) lgkmcnt(4)
	v_mul_f32_e32 v7, v17, v36
	s_waitcnt lgkmcnt(3)
	v_mul_f32_e32 v22, v20, v38
	v_mul_f32_e32 v28, v11, v36
	;; [unrolled: 1-line block ×3, first 2 shown]
	v_fma_f32 v7, v11, v35, -v7
	v_fma_f32 v22, v14, v37, -v22
	v_fmac_f32_e32 v28, v17, v35
	v_fmac_f32_e32 v29, v20, v37
	s_waitcnt vmcnt(1)
	v_mul_f32_e32 v17, v10, v40
	v_mul_f32_e32 v20, v13, v42
	;; [unrolled: 1-line block ×3, first 2 shown]
	v_sub_f32_e32 v35, v7, v22
	v_add_f32_e32 v38, v7, v22
	v_add_f32_e32 v7, v32, v7
	v_fmac_f32_e32 v17, v16, v39
	v_fmac_f32_e32 v20, v19, v41
	v_mul_f32_e32 v11, v16, v40
	s_waitcnt lgkmcnt(0)
	v_add_f32_e32 v37, v34, v28
	v_fma_f32 v42, v13, v41, -v14
	s_waitcnt vmcnt(0)
	v_mul_f32_e32 v41, v12, v46
	v_add_f32_e32 v13, v7, v22
	v_add_f32_e32 v22, v17, v20
	;; [unrolled: 1-line block ×3, first 2 shown]
	v_sub_f32_e32 v28, v28, v29
	v_fma_f32 v40, v10, v39, -v11
	v_mul_f32_e32 v19, v18, v46
	v_add_f32_e32 v14, v37, v29
	v_add_f32_e32 v29, v33, v17
	v_fmac_f32_e32 v41, v18, v45
	v_fma_f32 v18, -0.5, v22, v33
	v_fma_f32 v11, -0.5, v36, v34
	v_sub_f32_e32 v7, v40, v42
	v_sub_f32_e32 v34, v17, v20
	v_add_f32_e32 v20, v29, v20
	v_mov_b32_e32 v29, v18
	v_fmac_f32_e32 v18, 0xbf5db3d7, v7
	v_fmac_f32_e32 v29, 0x3f5db3d7, v7
	v_mul_hi_u32 v7, v26, s6
	v_fma_f32 v10, -0.5, v38, v32
	v_add_f32_e32 v32, v40, v42
	v_add_f32_e32 v36, v31, v40
	v_lshrrev_b32_e32 v7, 5, v7
	v_mul_u32_u24_e32 v7, 0x1f4, v7
	v_sub_u32_e32 v40, v26, v7
	v_fma_f32 v12, v12, v45, -v19
	v_add_f32_e32 v19, v36, v42
	v_mad_u64_u32 v[36:37], s[4:5], s2, v40, 0
	v_mul_f32_e32 v39, v9, v44
	v_fmac_f32_e32 v39, v15, v43
	v_mul_f32_e32 v16, v15, v44
	v_fma_f32 v17, -0.5, v32, v31
	v_add_f32_e32 v31, v39, v41
	v_mov_b32_e32 v7, v37
	v_fma_f32 v9, v9, v43, -v16
	v_mov_b32_e32 v16, v11
	v_fma_f32 v31, -0.5, v31, v30
	v_mad_u64_u32 v[37:38], s[4:5], s3, v40, v[7:8]
	v_fmac_f32_e32 v11, 0xbf5db3d7, v35
	v_sub_f32_e32 v22, v9, v12
	v_add_f32_e32 v32, v30, v39
	v_fmac_f32_e32 v16, 0x3f5db3d7, v35
	v_mov_b32_e32 v35, v31
	v_add_f32_e32 v7, v25, v9
	v_add_f32_e32 v33, v32, v41
	v_fmac_f32_e32 v31, 0xbf5db3d7, v22
	v_fmac_f32_e32 v35, 0x3f5db3d7, v22
	v_add_f32_e32 v22, v9, v12
	v_add_f32_e32 v32, v7, v12
	v_mov_b32_e32 v7, s15
	v_add_co_u32_e32 v9, vcc, s14, v3
	v_addc_co_u32_e32 v7, vcc, v7, v4, vcc
	v_add_co_u32_e32 v1, vcc, v9, v1
	v_lshlrev_b64 v[36:37], 3, v[36:37]
	v_addc_co_u32_e32 v2, vcc, v7, v2, vcc
	v_add_co_u32_e32 v36, vcc, v1, v36
	v_addc_co_u32_e32 v37, vcc, v2, v37, vcc
	v_add_u32_e32 v9, 0x3e8, v40
	v_add_u32_e32 v12, 0x1f4, v40
	global_store_dwordx2 v[36:37], v[32:33], off
	v_mad_u64_u32 v[32:33], s[4:5], s2, v9, 0
	v_mad_u64_u32 v[3:4], s[4:5], s2, v12, 0
	v_mov_b32_e32 v7, v33
	v_fma_f32 v30, -0.5, v22, v25
	v_sub_f32_e32 v22, v39, v41
	v_mad_u64_u32 v[38:39], s[4:5], s3, v12, v[4:5]
	v_mad_u64_u32 v[36:37], s[4:5], s3, v9, v[7:8]
	v_add_u32_e32 v7, 0x96, v26
	v_mul_hi_u32 v9, v7, s6
	v_mov_b32_e32 v4, v38
	v_lshlrev_b64 v[3:4], 3, v[3:4]
	v_mov_b32_e32 v15, v10
	v_lshrrev_b32_e32 v9, 5, v9
	v_mul_u32_u24_e32 v12, 0x1f4, v9
	v_fmac_f32_e32 v10, 0x3f5db3d7, v28
	v_fmac_f32_e32 v15, 0xbf5db3d7, v28
	v_mov_b32_e32 v28, v17
	v_add_co_u32_e32 v3, vcc, v1, v3
	v_sub_u32_e32 v7, v7, v12
	v_fmac_f32_e32 v17, 0x3f5db3d7, v34
	v_fmac_f32_e32 v28, 0xbf5db3d7, v34
	v_mov_b32_e32 v34, v30
	v_fmac_f32_e32 v30, 0x3f5db3d7, v22
	v_addc_co_u32_e32 v4, vcc, v2, v4, vcc
	v_mad_u32_u24 v9, v9, s10, v7
	global_store_dwordx2 v[3:4], v[30:31], off
	v_mad_u64_u32 v[30:31], s[4:5], s2, v9, 0
	v_mov_b32_e32 v33, v36
	v_lshlrev_b64 v[3:4], 3, v[32:33]
	v_mov_b32_e32 v7, v31
	v_mad_u64_u32 v[31:32], s[4:5], s3, v9, v[7:8]
	v_add_co_u32_e32 v3, vcc, v1, v3
	v_add_u32_e32 v12, 0x1f4, v9
	v_fmac_f32_e32 v34, 0xbf5db3d7, v22
	v_addc_co_u32_e32 v4, vcc, v2, v4, vcc
	v_mad_u64_u32 v[32:33], s[4:5], s2, v12, 0
	global_store_dwordx2 v[3:4], v[34:35], off
	v_lshlrev_b64 v[3:4], 3, v[30:31]
	v_mov_b32_e32 v7, v33
	v_add_co_u32_e32 v3, vcc, v1, v3
	v_addc_co_u32_e32 v4, vcc, v2, v4, vcc
	v_add_u32_e32 v9, 0x3e8, v9
	v_mad_u64_u32 v[30:31], s[4:5], s3, v12, v[7:8]
	global_store_dwordx2 v[3:4], v[19:20], off
	v_mad_u64_u32 v[19:20], s[4:5], s2, v9, 0
	v_add_u32_e32 v12, 0x12c, v26
	v_mul_hi_u32 v22, v12, s6
	v_mov_b32_e32 v7, v20
	v_mov_b32_e32 v33, v30
	v_mad_u64_u32 v[30:31], s[4:5], s3, v9, v[7:8]
	v_lshrrev_b32_e32 v7, 5, v22
	v_mul_u32_u24_e32 v9, 0x1f4, v7
	v_sub_u32_e32 v9, v12, v9
	v_mad_u32_u24 v9, v7, s10, v9
	v_lshlrev_b64 v[3:4], 3, v[32:33]
	v_mad_u64_u32 v[31:32], s[4:5], s2, v9, 0
	v_add_co_u32_e32 v3, vcc, v1, v3
	v_addc_co_u32_e32 v4, vcc, v2, v4, vcc
	v_mov_b32_e32 v7, v32
	global_store_dwordx2 v[3:4], v[17:18], off
	v_mad_u64_u32 v[17:18], s[4:5], s3, v9, v[7:8]
	v_add_u32_e32 v12, 0x1f4, v9
	v_mov_b32_e32 v20, v30
	v_mov_b32_e32 v32, v17
	v_mad_u64_u32 v[17:18], s[4:5], s2, v12, 0
	v_lshlrev_b64 v[3:4], 3, v[19:20]
	v_add_u32_e32 v9, 0x3e8, v9
	v_mov_b32_e32 v7, v18
	v_add_co_u32_e32 v3, vcc, v1, v3
	v_mad_u64_u32 v[18:19], s[4:5], s3, v12, v[7:8]
	v_addc_co_u32_e32 v4, vcc, v2, v4, vcc
	v_mad_u64_u32 v[19:20], s[4:5], s2, v9, 0
	global_store_dwordx2 v[3:4], v[28:29], off
	v_lshlrev_b64 v[3:4], 3, v[31:32]
	v_mov_b32_e32 v7, v20
	v_add_co_u32_e32 v3, vcc, v1, v3
	v_addc_co_u32_e32 v4, vcc, v2, v4, vcc
	global_store_dwordx2 v[3:4], v[13:14], off
	v_mad_u64_u32 v[12:13], s[4:5], s3, v9, v[7:8]
	v_lshlrev_b64 v[3:4], 3, v[17:18]
	v_add_co_u32_e32 v3, vcc, v1, v3
	v_addc_co_u32_e32 v4, vcc, v2, v4, vcc
	v_mov_b32_e32 v20, v12
	global_store_dwordx2 v[3:4], v[10:11], off
	v_lshlrev_b64 v[3:4], 3, v[19:20]
	v_add_co_u32_e32 v3, vcc, v1, v3
	v_addc_co_u32_e32 v4, vcc, v2, v4, vcc
	global_store_dwordx2 v[3:4], v[15:16], off
	v_add_u32_e32 v3, 0x1c2, v26
	v_cmp_gt_u32_e32 vcc, s7, v3
	s_and_b64 exec, exec, vcc
	s_cbranch_execz .LBB0_20
; %bb.19:
	v_subrev_u32_e32 v4, 50, v26
	v_cndmask_b32_e64 v4, v4, v27, s[0:1]
	v_lshlrev_b32_e32 v7, 1, v4
	v_lshlrev_b64 v[7:8], 3, v[7:8]
	v_mov_b32_e32 v4, s9
	v_add_co_u32_e32 v7, vcc, s8, v7
	v_addc_co_u32_e32 v8, vcc, v4, v8, vcc
	global_load_dwordx4 v[7:10], v[7:8], off offset:3960
	v_mad_u64_u32 v[11:12], s[0:1], s2, v3, 0
	v_add_u32_e32 v17, 0x3b6, v26
	v_add_u32_e32 v18, 0x5aa, v26
	v_mad_u64_u32 v[13:14], s[0:1], s2, v17, 0
	v_mad_u64_u32 v[15:16], s[0:1], s2, v18, 0
	v_mov_b32_e32 v4, v12
	v_mad_u64_u32 v[3:4], s[0:1], s3, v3, v[4:5]
	v_mov_b32_e32 v4, v14
	v_mov_b32_e32 v12, v16
	v_mad_u64_u32 v[16:17], s[0:1], s3, v17, v[4:5]
	v_mad_u64_u32 v[17:18], s[0:1], s3, v18, v[12:13]
	v_mov_b32_e32 v12, v3
	v_lshlrev_b64 v[3:4], 3, v[11:12]
	v_mov_b32_e32 v14, v16
	v_lshlrev_b64 v[11:12], 3, v[13:14]
	v_add_co_u32_e32 v3, vcc, v1, v3
	v_mov_b32_e32 v16, v17
	v_addc_co_u32_e32 v4, vcc, v2, v4, vcc
	v_lshlrev_b64 v[13:14], 3, v[15:16]
	v_add_co_u32_e32 v11, vcc, v1, v11
	v_addc_co_u32_e32 v12, vcc, v2, v12, vcc
	v_add_co_u32_e32 v1, vcc, v1, v13
	v_addc_co_u32_e32 v2, vcc, v2, v14, vcc
	s_waitcnt vmcnt(0)
	v_mul_f32_e32 v13, v24, v8
	v_mul_f32_e32 v8, v23, v8
	;; [unrolled: 1-line block ×4, first 2 shown]
	v_fma_f32 v13, v23, v7, -v13
	v_fmac_f32_e32 v8, v24, v7
	v_fma_f32 v7, v21, v9, -v14
	v_fmac_f32_e32 v10, v0, v9
	v_add_f32_e32 v9, v13, v7
	v_add_f32_e32 v16, v8, v10
	;; [unrolled: 1-line block ×4, first 2 shown]
	v_fmac_f32_e32 v5, -0.5, v9
	v_fmac_f32_e32 v6, -0.5, v16
	v_sub_f32_e32 v14, v8, v10
	v_sub_f32_e32 v13, v13, v7
	v_add_f32_e32 v8, v15, v10
	v_mov_b32_e32 v9, v5
	v_mov_b32_e32 v10, v6
	v_add_f32_e32 v7, v0, v7
	v_fmac_f32_e32 v9, 0x3f5db3d7, v14
	v_fmac_f32_e32 v10, 0xbf5db3d7, v13
	;; [unrolled: 1-line block ×4, first 2 shown]
	global_store_dwordx2 v[3:4], v[7:8], off
	global_store_dwordx2 v[11:12], v[9:10], off
	global_store_dwordx2 v[1:2], v[5:6], off
.LBB0_20:
	s_endpgm
	.section	.rodata,"a",@progbits
	.p2align	6, 0x0
	.amdhsa_kernel fft_rtc_fwd_len1500_factors_5_10_10_3_wgs_150_tpt_150_halfLds_sp_op_CI_CI_sbrr_dirReg
		.amdhsa_group_segment_fixed_size 0
		.amdhsa_private_segment_fixed_size 0
		.amdhsa_kernarg_size 104
		.amdhsa_user_sgpr_count 6
		.amdhsa_user_sgpr_private_segment_buffer 1
		.amdhsa_user_sgpr_dispatch_ptr 0
		.amdhsa_user_sgpr_queue_ptr 0
		.amdhsa_user_sgpr_kernarg_segment_ptr 1
		.amdhsa_user_sgpr_dispatch_id 0
		.amdhsa_user_sgpr_flat_scratch_init 0
		.amdhsa_user_sgpr_private_segment_size 0
		.amdhsa_uses_dynamic_stack 0
		.amdhsa_system_sgpr_private_segment_wavefront_offset 0
		.amdhsa_system_sgpr_workgroup_id_x 1
		.amdhsa_system_sgpr_workgroup_id_y 0
		.amdhsa_system_sgpr_workgroup_id_z 0
		.amdhsa_system_sgpr_workgroup_info 0
		.amdhsa_system_vgpr_workitem_id 0
		.amdhsa_next_free_vgpr 63
		.amdhsa_next_free_sgpr 32
		.amdhsa_reserve_vcc 1
		.amdhsa_reserve_flat_scratch 0
		.amdhsa_float_round_mode_32 0
		.amdhsa_float_round_mode_16_64 0
		.amdhsa_float_denorm_mode_32 3
		.amdhsa_float_denorm_mode_16_64 3
		.amdhsa_dx10_clamp 1
		.amdhsa_ieee_mode 1
		.amdhsa_fp16_overflow 0
		.amdhsa_exception_fp_ieee_invalid_op 0
		.amdhsa_exception_fp_denorm_src 0
		.amdhsa_exception_fp_ieee_div_zero 0
		.amdhsa_exception_fp_ieee_overflow 0
		.amdhsa_exception_fp_ieee_underflow 0
		.amdhsa_exception_fp_ieee_inexact 0
		.amdhsa_exception_int_div_zero 0
	.end_amdhsa_kernel
	.text
.Lfunc_end0:
	.size	fft_rtc_fwd_len1500_factors_5_10_10_3_wgs_150_tpt_150_halfLds_sp_op_CI_CI_sbrr_dirReg, .Lfunc_end0-fft_rtc_fwd_len1500_factors_5_10_10_3_wgs_150_tpt_150_halfLds_sp_op_CI_CI_sbrr_dirReg
                                        ; -- End function
	.section	.AMDGPU.csdata,"",@progbits
; Kernel info:
; codeLenInByte = 7536
; NumSgprs: 36
; NumVgprs: 63
; ScratchSize: 0
; MemoryBound: 0
; FloatMode: 240
; IeeeMode: 1
; LDSByteSize: 0 bytes/workgroup (compile time only)
; SGPRBlocks: 4
; VGPRBlocks: 15
; NumSGPRsForWavesPerEU: 36
; NumVGPRsForWavesPerEU: 63
; Occupancy: 4
; WaveLimiterHint : 1
; COMPUTE_PGM_RSRC2:SCRATCH_EN: 0
; COMPUTE_PGM_RSRC2:USER_SGPR: 6
; COMPUTE_PGM_RSRC2:TRAP_HANDLER: 0
; COMPUTE_PGM_RSRC2:TGID_X_EN: 1
; COMPUTE_PGM_RSRC2:TGID_Y_EN: 0
; COMPUTE_PGM_RSRC2:TGID_Z_EN: 0
; COMPUTE_PGM_RSRC2:TIDIG_COMP_CNT: 0
	.type	__hip_cuid_f8caf7bacba34522,@object ; @__hip_cuid_f8caf7bacba34522
	.section	.bss,"aw",@nobits
	.globl	__hip_cuid_f8caf7bacba34522
__hip_cuid_f8caf7bacba34522:
	.byte	0                               ; 0x0
	.size	__hip_cuid_f8caf7bacba34522, 1

	.ident	"AMD clang version 19.0.0git (https://github.com/RadeonOpenCompute/llvm-project roc-6.4.0 25133 c7fe45cf4b819c5991fe208aaa96edf142730f1d)"
	.section	".note.GNU-stack","",@progbits
	.addrsig
	.addrsig_sym __hip_cuid_f8caf7bacba34522
	.amdgpu_metadata
---
amdhsa.kernels:
  - .args:
      - .actual_access:  read_only
        .address_space:  global
        .offset:         0
        .size:           8
        .value_kind:     global_buffer
      - .offset:         8
        .size:           8
        .value_kind:     by_value
      - .actual_access:  read_only
        .address_space:  global
        .offset:         16
        .size:           8
        .value_kind:     global_buffer
      - .actual_access:  read_only
        .address_space:  global
        .offset:         24
        .size:           8
        .value_kind:     global_buffer
      - .actual_access:  read_only
        .address_space:  global
        .offset:         32
        .size:           8
        .value_kind:     global_buffer
      - .offset:         40
        .size:           8
        .value_kind:     by_value
      - .actual_access:  read_only
        .address_space:  global
        .offset:         48
        .size:           8
        .value_kind:     global_buffer
      - .actual_access:  read_only
        .address_space:  global
        .offset:         56
        .size:           8
        .value_kind:     global_buffer
      - .offset:         64
        .size:           4
        .value_kind:     by_value
      - .actual_access:  read_only
        .address_space:  global
        .offset:         72
        .size:           8
        .value_kind:     global_buffer
      - .actual_access:  read_only
        .address_space:  global
        .offset:         80
        .size:           8
        .value_kind:     global_buffer
      - .actual_access:  read_only
        .address_space:  global
        .offset:         88
        .size:           8
        .value_kind:     global_buffer
      - .actual_access:  write_only
        .address_space:  global
        .offset:         96
        .size:           8
        .value_kind:     global_buffer
    .group_segment_fixed_size: 0
    .kernarg_segment_align: 8
    .kernarg_segment_size: 104
    .language:       OpenCL C
    .language_version:
      - 2
      - 0
    .max_flat_workgroup_size: 150
    .name:           fft_rtc_fwd_len1500_factors_5_10_10_3_wgs_150_tpt_150_halfLds_sp_op_CI_CI_sbrr_dirReg
    .private_segment_fixed_size: 0
    .sgpr_count:     36
    .sgpr_spill_count: 0
    .symbol:         fft_rtc_fwd_len1500_factors_5_10_10_3_wgs_150_tpt_150_halfLds_sp_op_CI_CI_sbrr_dirReg.kd
    .uniform_work_group_size: 1
    .uses_dynamic_stack: false
    .vgpr_count:     63
    .vgpr_spill_count: 0
    .wavefront_size: 64
amdhsa.target:   amdgcn-amd-amdhsa--gfx906
amdhsa.version:
  - 1
  - 2
...

	.end_amdgpu_metadata
